;; amdgpu-corpus repo=ROCm/rocFFT kind=compiled arch=gfx950 opt=O3
	.text
	.amdgcn_target "amdgcn-amd-amdhsa--gfx950"
	.amdhsa_code_object_version 6
	.protected	fft_rtc_fwd_len121_factors_11_11_wgs_121_tpt_11_sp_op_CI_CI_sbrc_z_xy_unaligned ; -- Begin function fft_rtc_fwd_len121_factors_11_11_wgs_121_tpt_11_sp_op_CI_CI_sbrc_z_xy_unaligned
	.globl	fft_rtc_fwd_len121_factors_11_11_wgs_121_tpt_11_sp_op_CI_CI_sbrc_z_xy_unaligned
	.p2align	8
	.type	fft_rtc_fwd_len121_factors_11_11_wgs_121_tpt_11_sp_op_CI_CI_sbrc_z_xy_unaligned,@function
fft_rtc_fwd_len121_factors_11_11_wgs_121_tpt_11_sp_op_CI_CI_sbrc_z_xy_unaligned: ; @fft_rtc_fwd_len121_factors_11_11_wgs_121_tpt_11_sp_op_CI_CI_sbrc_z_xy_unaligned
; %bb.0:
	s_load_dwordx8 s[4:11], s[0:1], 0x0
	s_waitcnt lgkmcnt(0)
	s_load_dwordx4 s[12:15], s[8:9], 0x8
	s_waitcnt lgkmcnt(0)
	s_add_i32 s3, s12, -1
	s_mul_hi_u32 s3, s3, 0xba2e8ba3
	s_lshr_b32 s3, s3, 3
	s_add_i32 s8, s3, 1
	s_mul_i32 s9, s8, s14
	v_cvt_f32_u32_e32 v2, s9
	v_cvt_f32_u32_e32 v1, s8
	s_sub_i32 s13, 0, s9
	s_load_dwordx2 s[14:15], s[0:1], 0x20
	s_load_dwordx4 s[16:19], s[10:11], 0x0
	v_rcp_iflag_f32_e32 v2, v2
	v_rcp_iflag_f32_e32 v1, v1
	s_load_dword s20, s[10:11], 0x10
	v_mul_f32_e32 v2, 0x4f7ffffe, v2
	v_cvt_u32_f32_e32 v2, v2
	v_mul_f32_e32 v1, 0x4f7ffffe, v1
	v_cvt_u32_f32_e32 v1, v1
	v_readfirstlane_b32 s22, v2
	s_mul_i32 s13, s13, s22
	s_mul_hi_u32 s13, s22, s13
	s_add_i32 s22, s22, s13
	s_mul_hi_u32 s13, s2, s22
	s_mul_i32 s22, s13, s9
	s_sub_i32 s22, s2, s22
	s_add_i32 s23, s13, 1
	s_sub_i32 s24, s22, s9
	s_cmp_ge_u32 s22, s9
	s_cselect_b32 s13, s23, s13
	s_cselect_b32 s22, s24, s22
	s_add_i32 s23, s13, 1
	s_cmp_ge_u32 s22, s9
	v_readfirstlane_b32 s21, v1
	s_cselect_b32 s13, s23, s13
	s_not_b32 s3, s3
	s_mul_i32 s3, s3, s21
	s_mul_i32 s9, s13, s9
	s_mul_hi_u32 s3, s21, s3
	s_sub_i32 s9, s2, s9
	s_add_i32 s21, s21, s3
	s_mul_hi_u32 s3, s9, s21
	s_mul_i32 s22, s3, s8
	s_sub_i32 s9, s9, s22
	s_add_i32 s23, s3, 1
	s_sub_i32 s22, s9, s8
	s_cmp_ge_u32 s9, s8
	s_cselect_b32 s3, s23, s3
	s_cselect_b32 s9, s22, s9
	s_add_i32 s22, s3, 1
	s_cmp_ge_u32 s9, s8
	s_cselect_b32 s33, s22, s3
	s_mul_hi_u32 s3, s2, s21
	s_mul_i32 s3, s3, s8
	s_sub_i32 s3, s2, s3
	s_sub_i32 s9, s3, s8
	s_cmp_ge_u32 s3, s8
	s_cselect_b32 s3, s9, s3
	s_sub_i32 s9, s3, s8
	s_cmp_ge_u32 s3, s8
	s_cselect_b32 s3, s9, s3
	s_mul_i32 s54, s3, 11
	s_waitcnt lgkmcnt(0)
	s_mul_i32 s8, s33, s20
	s_mul_i32 s9, s54, s18
	s_add_i32 s28, s9, s8
	s_lshl_b64 s[20:21], s[6:7], 3
	s_add_u32 s24, s10, s20
	s_addc_u32 s25, s11, s21
	s_load_dwordx2 s[26:27], s[24:25], 0x0
	s_load_dwordx2 s[22:23], s[0:1], 0x58
	s_load_dwordx4 s[8:11], s[14:15], 0x0
	s_load_dwordx2 s[6:7], s[14:15], 0x10
	v_mul_u32_u24_e32 v1, 0x21e, v0
	s_waitcnt lgkmcnt(0)
	s_mul_i32 s7, s27, s13
	s_mul_hi_u32 s11, s26, s13
	s_add_i32 s11, s11, s7
	s_mul_i32 s7, s26, s13
	s_add_u32 s24, s7, s28
	s_addc_u32 s25, s11, 0
	s_add_u32 s14, s14, s20
	s_addc_u32 s15, s15, s21
	s_load_dwordx2 s[14:15], s[14:15], 0x0
	s_add_i32 s7, s54, 11
	s_cmp_le_u32 s7, s12
	v_lshrrev_b32_e32 v2, 16, v1
	s_cselect_b64 s[20:21], -1, 0
	v_mul_lo_u16_e32 v1, 0x79, v2
	v_sub_u16_e32 v3, v0, v1
	s_mov_b64 s[26:27], -1
	s_and_b64 vcc, exec, s[20:21]
	s_cbranch_vccnz .LBB0_14
; %bb.1:
	v_add_u32_e32 v1, s54, v2
	v_cmp_gt_u32_e32 vcc, s12, v1
	s_and_saveexec_b64 s[26:27], vcc
	s_cbranch_execz .LBB0_13
; %bb.2:
	v_mad_u64_u32 v[4:5], s[28:29], s16, v3, 0
	v_mov_b32_e32 v6, v5
	v_mad_u64_u32 v[6:7], s[28:29], s17, v3, v[6:7]
	s_lshl_b64 s[28:29], s[24:25], 3
	s_add_u32 s28, s22, s28
	s_addc_u32 s29, s23, s29
	s_sub_i32 s3, s2, s3
	s_mul_i32 s7, s3, 11
	s_add_i32 s7, s7, s12
	v_sub_u32_e32 v1, s7, v2
	s_mul_i32 s11, s2, -11
	v_mov_b32_e32 v5, v6
	v_add_u32_e32 v11, s11, v1
	v_lshl_add_u64 v[4:5], v[4:5], 3, s[28:29]
	v_cmp_lt_u32_e32 vcc, 41, v11
	s_mov_b64 s[2:3], 0
                                        ; implicit-def: $vgpr10
                                        ; implicit-def: $vgpr7
	s_and_saveexec_b64 s[28:29], vcc
	s_xor_b64 s[28:29], exec, s[28:29]
	s_cbranch_execnz .LBB0_5
; %bb.3:
	s_andn2_saveexec_b64 s[28:29], s[28:29]
	s_cbranch_execnz .LBB0_10
.LBB0_4:
	s_or_b64 exec, exec, s[28:29]
	s_and_b64 exec, exec, s[2:3]
	s_cbranch_execnz .LBB0_11
	s_branch .LBB0_13
.LBB0_5:
	v_not_b32_e32 v1, v2
	s_add_i32 s11, s11, s7
	v_add_u32_e32 v10, s11, v1
	s_movk_i32 s7, 0x3c8
	v_mul_u32_u24_e32 v6, 0x3c8, v2
	v_lshlrev_b32_e32 v7, 3, v3
	v_add3_u32 v6, 0, v6, v7
	v_mul_hi_u32 v8, v10, s7
	v_cmp_ne_u32_e32 vcc, 0, v8
	v_mad_u64_u32 v[8:9], s[2:3], v10, s7, v[6:7]
	v_cmp_lt_u32_e64 s[2:3], v8, v6
	v_add_u32_e32 v6, 4, v6
	v_add_u32_e32 v8, 4, v8
	s_or_b64 s[30:31], s[2:3], vcc
	v_cmp_lt_u32_e64 s[2:3], v8, v6
	s_or_b64 s[2:3], s[2:3], vcc
	s_cmp_eq_u64 s[18:19], 1
	s_cselect_b64 s[34:35], -1, 0
	s_or_b64 s[2:3], s[30:31], s[2:3]
	s_xor_b64 s[2:3], s[2:3], -1
	v_cmp_le_u32_e32 vcc, v10, v1
	s_and_b64 s[2:3], s[2:3], s[34:35]
	s_mov_b32 s11, 0
	s_mov_b64 s[30:31], -1
	s_and_b64 s[34:35], s[2:3], vcc
	v_mov_b32_e32 v10, 0
	s_and_saveexec_b64 s[2:3], s[34:35]
	s_cbranch_execz .LBB0_9
; %bb.6:
	v_and_b32_e32 v10, -2, v11
	v_lshl_add_u32 v6, v3, 3, 0
	v_mov_b32_e32 v1, v2
	s_mov_b32 s19, s18
	s_mov_b32 s34, 1
	s_mov_b64 s[30:31], 0
	v_mov_b32_e32 v9, 0
	v_mov_b32_e32 v12, v10
.LBB0_7:                                ; =>This Inner Loop Header: Depth=1
	v_add_u32_e32 v13, s11, v2
	v_add_u32_e32 v22, s34, v1
	v_mul_lo_u32 v8, v13, s18
	v_mov_b32_e32 v15, v9
	v_mul_lo_u32 v14, v22, s19
	v_lshl_add_u64 v[16:17], v[8:9], 3, v[4:5]
	v_lshl_add_u64 v[14:15], v[14:15], 3, v[4:5]
	global_load_dwordx2 v[18:19], v[16:17], off
	global_load_dwordx2 v[20:21], v[14:15], off
	v_add_u32_e32 v12, -2, v12
	s_add_i32 s11, s11, 2
	s_add_i32 s34, s34, 2
	v_cmp_eq_u32_e32 vcc, 0, v12
	v_mad_u64_u32 v[14:15], s[36:37], v13, s7, v[6:7]
	s_or_b64 s[30:31], vcc, s[30:31]
	v_mad_u64_u32 v[16:17], s[36:37], v22, s7, v[6:7]
	s_waitcnt vmcnt(1)
	ds_write_b32 v14, v18
	s_waitcnt vmcnt(0)
	ds_write_b32 v16, v20
	ds_write_b32 v14, v19 offset:4
	ds_write_b32 v16, v21 offset:4
	s_andn2_b64 exec, exec, s[30:31]
	s_cbranch_execnz .LBB0_7
; %bb.8:
	s_or_b64 exec, exec, s[30:31]
	v_cmp_ne_u32_e32 vcc, v11, v10
	s_orn2_b64 s[30:31], vcc, exec
.LBB0_9:
	s_or_b64 exec, exec, s[2:3]
	s_and_b64 s[2:3], s[30:31], exec
	s_andn2_saveexec_b64 s[28:29], s[28:29]
	s_cbranch_execz .LBB0_4
.LBB0_10:
	v_lshlrev_b32_e32 v7, 3, v3
	v_mov_b32_e32 v10, 0
	s_or_b64 s[2:3], s[2:3], exec
	s_or_b64 exec, exec, s[28:29]
	s_and_b64 exec, exec, s[2:3]
	s_cbranch_execz .LBB0_13
.LBB0_11:
	v_add_u32_e32 v8, v10, v2
	s_movk_i32 s2, 0x3c8
	v_mul_lo_u32 v1, v8, s2
	v_add3_u32 v1, v1, v7, 0
	v_mul_lo_u32 v6, v8, s18
	v_add_u32_e32 v8, s54, v8
	s_mov_b64 s[2:3], 0
	v_mov_b32_e32 v7, 0
.LBB0_12:                               ; =>This Inner Loop Header: Depth=1
	v_lshl_add_u64 v[10:11], v[6:7], 3, v[4:5]
	global_load_dwordx2 v[10:11], v[10:11], off
	v_add_u32_e32 v8, 1, v8
	v_cmp_le_u32_e32 vcc, s12, v8
	v_add_u32_e32 v6, s18, v6
	s_or_b64 s[2:3], vcc, s[2:3]
	s_waitcnt vmcnt(0)
	ds_write_b64 v1, v[10:11]
	v_add_u32_e32 v1, 0x3c8, v1
	s_andn2_b64 exec, exec, s[2:3]
	s_cbranch_execnz .LBB0_12
.LBB0_13:
	s_or_b64 exec, exec, s[26:27]
	s_mov_b64 s[26:27], 0
.LBB0_14:
	s_andn2_b64 vcc, exec, s[26:27]
	s_cbranch_vccnz .LBB0_16
; %bb.15:
	v_mad_u64_u32 v[4:5], s[2:3], s16, v3, 0
	v_mov_b32_e32 v6, v5
	v_mad_u64_u32 v[6:7], s[2:3], s17, v3, v[6:7]
	s_lshl_b64 s[2:3], s[24:25], 3
	s_add_u32 s2, s22, s2
	v_mov_b32_e32 v5, v6
	s_addc_u32 s3, s23, s3
	v_mul_lo_u32 v6, s18, v2
	v_mov_b32_e32 v7, 0
	v_lshl_add_u64 v[4:5], v[4:5], 3, s[2:3]
	v_lshl_add_u64 v[8:9], v[6:7], 3, v[4:5]
	v_add_u32_e32 v6, s18, v6
	v_lshl_add_u64 v[10:11], v[6:7], 3, v[4:5]
	v_add_u32_e32 v6, s18, v6
	;; [unrolled: 2-line block ×4, first 2 shown]
	global_load_dwordx2 v[16:17], v[8:9], off
	global_load_dwordx2 v[18:19], v[10:11], off
	;; [unrolled: 1-line block ×4, first 2 shown]
	v_lshl_add_u64 v[8:9], v[6:7], 3, v[4:5]
	v_add_u32_e32 v6, s18, v6
	v_lshl_add_u64 v[10:11], v[6:7], 3, v[4:5]
	v_add_u32_e32 v6, s18, v6
	v_lshl_add_u64 v[12:13], v[6:7], 3, v[4:5]
	v_add_u32_e32 v6, s18, v6
	v_lshl_add_u64 v[14:15], v[6:7], 3, v[4:5]
	v_add_u32_e32 v6, s18, v6
	global_load_dwordx2 v[24:25], v[8:9], off
	global_load_dwordx2 v[26:27], v[10:11], off
	;; [unrolled: 1-line block ×4, first 2 shown]
	v_lshl_add_u64 v[8:9], v[6:7], 3, v[4:5]
	v_add_u32_e32 v6, s18, v6
	v_lshl_add_u64 v[10:11], v[6:7], 3, v[4:5]
	v_add_u32_e32 v6, s18, v6
	v_lshl_add_u64 v[4:5], v[6:7], 3, v[4:5]
	global_load_dwordx2 v[6:7], v[8:9], off
	global_load_dwordx2 v[12:13], v[10:11], off
	;; [unrolled: 1-line block ×3, first 2 shown]
	v_mul_u32_u24_e32 v1, 0x3c8, v2
	v_lshlrev_b32_e32 v2, 3, v3
	v_add3_u32 v1, 0, v1, v2
	v_add_u32_e32 v2, 0x400, v1
	s_waitcnt vmcnt(9)
	ds_write2_b64 v1, v[16:17], v[18:19] offset1:121
	s_waitcnt vmcnt(7)
	ds_write2_b64 v2, v[20:21], v[22:23] offset0:114 offset1:235
	v_add_u32_e32 v2, 0xc00, v1
	s_waitcnt vmcnt(5)
	ds_write2_b64 v2, v[24:25], v[26:27] offset0:100 offset1:221
	v_add_u32_e32 v2, 0x1400, v1
	;; [unrolled: 3-line block ×3, first 2 shown]
	s_waitcnt vmcnt(1)
	ds_write2_b64 v2, v[6:7], v[12:13] offset0:72 offset1:193
	s_waitcnt vmcnt(0)
	ds_write_b64 v1, v[14:15] offset:9680
.LBB0_16:
	s_movk_i32 s2, 0x1746
	v_mul_u32_u24_sdwa v1, v0, s2 dst_sel:DWORD dst_unused:UNUSED_PAD src0_sel:WORD_0 src1_sel:DWORD
	v_lshrrev_b32_e32 v32, 16, v1
	v_add_u32_e32 v1, s54, v32
	s_mov_b32 s2, 0xba2e8ba3
	v_mul_hi_u32 v2, v1, s2
	v_lshrrev_b32_e32 v2, 3, v2
	v_mul_lo_u32 v2, v2, 11
	s_mov_b32 s2, 0x1745d175
	v_sub_u32_e32 v1, v1, v2
	v_mul_hi_u32 v2, v0, s2
	v_mul_u32_u24_e32 v2, 11, v2
	v_mul_u32_u24_e32 v1, 0x79, v1
	v_sub_u32_e32 v33, v0, v2
	v_lshlrev_b32_e32 v0, 3, v1
	v_lshlrev_b32_e32 v1, 3, v33
	v_add3_u32 v35, 0, v0, v1
	s_waitcnt lgkmcnt(0)
	s_barrier
	v_add3_u32 v34, 0, v1, v0
	ds_read_b64 v[0:1], v35
	ds_read2_b64 v[2:5], v34 offset0:11 offset1:22
	ds_read2_b64 v[6:9], v34 offset0:33 offset1:44
	;; [unrolled: 1-line block ×5, first 2 shown]
	s_waitcnt lgkmcnt(4)
	v_pk_add_f32 v[22:23], v[0:1], v[2:3]
	s_movk_i32 s2, 0x50
	v_pk_add_f32 v[22:23], v[22:23], v[4:5]
	v_mad_u32_u24 v122, v33, s2, v34
	s_waitcnt lgkmcnt(3)
	v_pk_add_f32 v[22:23], v[22:23], v[6:7]
	s_mov_b32 s2, 0xbf0a6770
	v_pk_add_f32 v[22:23], v[22:23], v[8:9]
	s_waitcnt lgkmcnt(0)
	v_pk_add_f32 v[38:39], v[20:21], v[2:3]
	v_pk_add_f32 v[22:23], v[22:23], v[10:11]
	s_mov_b32 s3, 0x3f575c64
	v_pk_add_f32 v[22:23], v[22:23], v[12:13]
	s_mov_b32 s36, s3
	;; [unrolled: 2-line block ×3, first 2 shown]
	v_pk_add_f32 v[22:23], v[22:23], v[16:17]
	v_pk_add_f32 v[42:43], v[16:17], v[6:7]
	;; [unrolled: 1-line block ×3, first 2 shown]
	v_pk_add_f32 v[16:17], v[6:7], v[16:17] neg_lo:[0,1] neg_hi:[0,1]
	v_pk_add_f32 v[36:37], v[22:23], v[20:21]
	v_pk_add_f32 v[20:21], v[2:3], v[20:21] neg_lo:[0,1] neg_hi:[0,1]
	v_mov_b32_e32 v3, v39
	v_mov_b32_e32 v39, v20
	;; [unrolled: 1-line block ×3, first 2 shown]
	v_pk_mul_f32 v[6:7], v[38:39], s[36:37]
	v_pk_add_f32 v[40:41], v[18:19], v[4:5]
	v_pk_add_f32 v[18:19], v[4:5], v[18:19] neg_lo:[0,1] neg_hi:[0,1]
	v_pk_add_f32 v[44:45], v[14:15], v[8:9]
	v_pk_add_f32 v[22:23], v[8:9], v[14:15] neg_lo:[0,1] neg_hi:[0,1]
	v_pk_fma_f32 v[8:9], v[2:3], s[2:3], v[6:7] neg_lo:[1,0,0] neg_hi:[1,0,0]
	v_pk_fma_f32 v[4:5], v[2:3], s[2:3], v[6:7]
	s_mov_b32 s16, 0xbf68dda4
	v_mov_b32_e32 v9, v5
	s_mov_b32 s17, 0x3ed4b147
	v_pk_add_f32 v[14:15], v[0:1], v[8:9]
	v_mov_b32_e32 v9, v41
	v_mov_b32_e32 v41, v18
	s_mov_b32 s44, s17
	s_mov_b32 s45, s16
	v_pk_add_f32 v[46:47], v[12:13], v[10:11]
	v_pk_add_f32 v[28:29], v[10:11], v[12:13] neg_lo:[0,1] neg_hi:[0,1]
	v_mov_b32_e32 v8, v19
	v_pk_mul_f32 v[12:13], v[40:41], s[44:45]
	s_mov_b32 s18, 0xbf7d64f0
	v_pk_fma_f32 v[18:19], v[8:9], s[16:17], v[12:13] neg_lo:[1,0,0] neg_hi:[1,0,0]
	v_pk_fma_f32 v[10:11], v[8:9], s[16:17], v[12:13]
	s_mov_b32 s19, 0xbe11bafb
	v_mov_b32_e32 v19, v11
	v_pk_add_f32 v[20:21], v[18:19], v[14:15]
	v_mov_b32_e32 v15, v43
	v_mov_b32_e32 v43, v16
	s_mov_b32 s34, s19
	s_mov_b32 s35, s18
	v_mov_b32_e32 v14, v17
	v_pk_mul_f32 v[18:19], v[42:43], s[34:35]
	s_mov_b32 s22, 0xbf4178ce
	v_pk_fma_f32 v[24:25], v[14:15], s[18:19], v[18:19] neg_lo:[1,0,0] neg_hi:[1,0,0]
	v_pk_fma_f32 v[16:17], v[14:15], s[18:19], v[18:19]
	s_mov_b32 s23, 0xbf27a4f4
	v_mov_b32_e32 v25, v17
	v_pk_add_f32 v[26:27], v[24:25], v[20:21]
	v_mov_b32_e32 v21, v45
	v_mov_b32_e32 v45, v22
	s_mov_b32 s38, s23
	s_mov_b32 s39, s22
	;; [unrolled: 12-line block ×3, first 2 shown]
	v_mov_b32_e32 v26, v29
	v_pk_mul_f32 v[30:31], v[46:47], s[42:43]
	s_nop 0
	v_pk_fma_f32 v[50:51], v[26:27], s[24:25], v[30:31] neg_lo:[1,0,0] neg_hi:[1,0,0]
	v_pk_fma_f32 v[28:29], v[26:27], s[24:25], v[30:31]
	s_barrier
	v_mov_b32_e32 v51, v29
	v_pk_add_f32 v[48:49], v[50:51], v[48:49]
	ds_write2_b64 v122, v[36:37], v[48:49] offset1:1
	v_pk_mul_f32 v[36:37], v[38:39], s[44:45]
	v_pk_mul_f32 v[52:53], v[40:41], s[38:39]
	v_pk_fma_f32 v[48:49], v[2:3], s[16:17], v[36:37] neg_lo:[1,0,0] neg_hi:[1,0,0]
	v_pk_fma_f32 v[50:51], v[2:3], s[16:17], v[36:37]
	v_pk_fma_f32 v[54:55], v[8:9], s[22:23], v[52:53] neg_lo:[1,0,0] neg_hi:[1,0,0]
	v_mov_b32_e32 v49, v51
	v_pk_fma_f32 v[56:57], v[8:9], s[22:23], v[52:53]
	s_mov_b32 s26, 0x3e903f40
	v_pk_add_f32 v[48:49], v[0:1], v[48:49]
	v_mov_b32_e32 v55, v57
	s_mov_b32 s52, s25
	s_mov_b32 s53, s26
	v_pk_add_f32 v[48:49], v[54:55], v[48:49]
	s_mov_b32 s27, s25
	v_pk_mul_f32 v[54:55], v[42:43], s[52:53]
	s_mov_b32 s28, 0x3f7d64f0
	v_pk_fma_f32 v[58:59], v[14:15], s[26:27], v[54:55] neg_lo:[1,0,0] neg_hi:[1,0,0]
	v_pk_fma_f32 v[60:61], v[14:15], s[26:27], v[54:55]
	s_mov_b32 s50, s19
	v_mov_b32_e32 v59, v61
	s_mov_b32 s51, s28
	v_pk_add_f32 v[48:49], v[58:59], v[48:49]
	s_mov_b32 s29, s19
	v_pk_mul_f32 v[58:59], v[44:45], s[50:51]
	s_mov_b32 s30, 0x3f0a6770
	v_pk_fma_f32 v[62:63], v[20:21], s[28:29], v[58:59] neg_lo:[1,0,0] neg_hi:[1,0,0]
	v_pk_fma_f32 v[64:65], v[20:21], s[28:29], v[58:59]
	s_mov_b32 s46, s3
	v_mov_b32_e32 v63, v65
	s_mov_b32 s47, s30
	v_pk_add_f32 v[48:49], v[62:63], v[48:49]
	s_mov_b32 s31, s3
	v_pk_mul_f32 v[62:63], v[46:47], s[46:47]
	v_pk_mul_f32 v[74:75], v[40:41], s[52:53]
	v_pk_fma_f32 v[66:67], v[26:27], s[30:31], v[62:63] neg_lo:[1,0,0] neg_hi:[1,0,0]
	v_pk_fma_f32 v[68:69], v[26:27], s[30:31], v[62:63]
	v_pk_fma_f32 v[76:77], v[8:9], s[26:27], v[74:75] neg_lo:[1,0,0] neg_hi:[1,0,0]
	v_mov_b32_e32 v67, v69
	v_pk_add_f32 v[48:49], v[66:67], v[48:49]
	v_pk_mul_f32 v[66:67], v[38:39], s[34:35]
	v_pk_fma_f32 v[78:79], v[8:9], s[26:27], v[74:75]
	v_pk_fma_f32 v[70:71], v[2:3], s[18:19], v[66:67] neg_lo:[1,0,0] neg_hi:[1,0,0]
	v_pk_fma_f32 v[72:73], v[2:3], s[18:19], v[66:67]
	s_mov_b32 s40, 0x3f68dda4
	v_mov_b32_e32 v71, v73
	v_pk_add_f32 v[70:71], v[0:1], v[70:71]
	v_mov_b32_e32 v77, v79
	s_mov_b32 s48, s17
	s_mov_b32 s49, s40
	v_pk_add_f32 v[70:71], v[76:77], v[70:71]
	s_mov_b32 s41, s17
	v_pk_mul_f32 v[76:77], v[42:43], s[48:49]
	v_pk_mul_f32 v[92:93], v[40:41], s[50:51]
	v_pk_fma_f32 v[80:81], v[14:15], s[40:41], v[76:77] neg_lo:[1,0,0] neg_hi:[1,0,0]
	v_pk_fma_f32 v[82:83], v[14:15], s[40:41], v[76:77]
	v_pk_fma_f32 v[94:95], v[8:9], s[28:29], v[92:93] neg_lo:[1,0,0] neg_hi:[1,0,0]
	v_mov_b32_e32 v81, v83
	v_pk_add_f32 v[70:71], v[80:81], v[70:71]
	v_pk_mul_f32 v[80:81], v[44:45], s[36:37]
	v_pk_fma_f32 v[96:97], v[8:9], s[28:29], v[92:93]
	v_pk_fma_f32 v[84:85], v[20:21], s[2:3], v[80:81] neg_lo:[1,0,0] neg_hi:[1,0,0]
	v_pk_fma_f32 v[86:87], v[20:21], s[2:3], v[80:81]
	v_mov_b32_e32 v95, v97
	v_mov_b32_e32 v85, v87
	v_pk_add_f32 v[70:71], v[84:85], v[70:71]
	v_pk_mul_f32 v[84:85], v[46:47], s[38:39]
	v_pk_mul_f32 v[40:41], v[40:41], s[46:47]
	v_pk_fma_f32 v[88:89], v[26:27], s[22:23], v[84:85] neg_lo:[1,0,0] neg_hi:[1,0,0]
	v_pk_fma_f32 v[90:91], v[26:27], s[22:23], v[84:85]
	v_pk_fma_f32 v[112:113], v[8:9], s[30:31], v[40:41] neg_lo:[1,0,0] neg_hi:[1,0,0]
	v_mov_b32_e32 v89, v91
	v_pk_add_f32 v[70:71], v[88:89], v[70:71]
	ds_write2_b64 v122, v[48:49], v[70:71] offset0:2 offset1:3
	v_pk_mul_f32 v[48:49], v[38:39], s[38:39]
	v_pk_mul_f32 v[38:39], v[38:39], s[42:43]
	v_pk_fma_f32 v[70:71], v[2:3], s[22:23], v[48:49] neg_lo:[1,0,0] neg_hi:[1,0,0]
	v_pk_fma_f32 v[88:89], v[2:3], s[22:23], v[48:49]
	v_pk_fma_f32 v[110:111], v[2:3], s[24:25], v[38:39]
	v_mov_b32_e32 v71, v89
	v_pk_add_f32 v[70:71], v[0:1], v[70:71]
	v_pk_fma_f32 v[114:115], v[8:9], s[30:31], v[40:41]
	v_pk_add_f32 v[70:71], v[94:95], v[70:71]
	v_pk_mul_f32 v[94:95], v[42:43], s[36:37]
	v_mov_b32_e32 v113, v115
	v_pk_fma_f32 v[98:99], v[14:15], s[2:3], v[94:95] neg_lo:[1,0,0] neg_hi:[1,0,0]
	v_pk_fma_f32 v[100:101], v[14:15], s[2:3], v[94:95]
	v_pk_mul_f32 v[42:43], v[42:43], s[38:39]
	v_mov_b32_e32 v99, v101
	v_pk_add_f32 v[70:71], v[98:99], v[70:71]
	v_pk_mul_f32 v[98:99], v[44:45], s[42:43]
	v_pk_fma_f32 v[116:117], v[14:15], s[22:23], v[42:43]
	v_pk_fma_f32 v[102:103], v[20:21], s[24:25], v[98:99] neg_lo:[1,0,0] neg_hi:[1,0,0]
	v_pk_fma_f32 v[104:105], v[20:21], s[24:25], v[98:99]
	v_pk_mul_f32 v[44:45], v[44:45], s[48:49]
	v_mov_b32_e32 v103, v105
	v_pk_add_f32 v[70:71], v[102:103], v[70:71]
	v_pk_mul_f32 v[102:103], v[46:47], s[48:49]
	v_pk_fma_f32 v[118:119], v[20:21], s[40:41], v[44:45]
	v_pk_fma_f32 v[106:107], v[26:27], s[40:41], v[102:103] neg_lo:[1,0,0] neg_hi:[1,0,0]
	v_pk_fma_f32 v[108:109], v[26:27], s[40:41], v[102:103]
	v_pk_mul_f32 v[46:47], v[46:47], s[34:35]
	v_mov_b32_e32 v107, v109
	v_pk_add_f32 v[70:71], v[106:107], v[70:71]
	v_pk_fma_f32 v[106:107], v[2:3], s[24:25], v[38:39] neg_lo:[1,0,0] neg_hi:[1,0,0]
	v_pk_fma_f32 v[38:39], v[2:3], s[24:25], v[38:39] neg_lo:[0,0,1] neg_hi:[0,0,1]
	v_mov_b32_e32 v107, v111
	v_pk_add_f32 v[106:107], v[0:1], v[106:107]
	v_mov_b32_e32 v111, v39
	v_pk_add_f32 v[106:107], v[112:113], v[106:107]
	v_pk_fma_f32 v[112:113], v[14:15], s[22:23], v[42:43] neg_lo:[1,0,0] neg_hi:[1,0,0]
	v_pk_fma_f32 v[38:39], v[8:9], s[30:31], v[40:41] neg_lo:[0,0,1] neg_hi:[0,0,1]
	v_mov_b32_e32 v113, v117
	v_pk_add_f32 v[106:107], v[112:113], v[106:107]
	v_pk_fma_f32 v[112:113], v[20:21], s[40:41], v[44:45] neg_lo:[1,0,0] neg_hi:[1,0,0]
	v_pk_fma_f32 v[40:41], v[14:15], s[22:23], v[42:43] neg_lo:[0,0,1] neg_hi:[0,0,1]
	v_mov_b32_e32 v113, v119
	v_mov_b32_e32 v117, v41
	v_pk_fma_f32 v[40:41], v[20:21], s[40:41], v[44:45] neg_lo:[0,0,1] neg_hi:[0,0,1]
	v_pk_add_f32 v[106:107], v[112:113], v[106:107]
	v_pk_fma_f32 v[112:113], v[26:27], s[18:19], v[46:47] neg_lo:[1,0,0] neg_hi:[1,0,0]
	v_pk_fma_f32 v[120:121], v[26:27], s[18:19], v[46:47]
	v_mov_b32_e32 v119, v41
	v_pk_fma_f32 v[40:41], v[26:27], s[18:19], v[46:47] neg_lo:[0,0,1] neg_hi:[0,0,1]
	v_mov_b32_e32 v113, v121
	v_mov_b32_e32 v121, v41
	v_pk_fma_f32 v[40:41], v[2:3], s[22:23], v[48:49] neg_lo:[0,0,1] neg_hi:[0,0,1]
	v_mov_b32_e32 v115, v39
	v_mov_b32_e32 v89, v41
	v_pk_fma_f32 v[40:41], v[8:9], s[28:29], v[92:93] neg_lo:[0,0,1] neg_hi:[0,0,1]
	v_pk_add_f32 v[38:39], v[0:1], v[110:111]
	v_mov_b32_e32 v97, v41
	v_pk_add_f32 v[40:41], v[0:1], v[88:89]
	v_pk_fma_f32 v[42:43], v[14:15], s[2:3], v[94:95] neg_lo:[0,0,1] neg_hi:[0,0,1]
	v_pk_add_f32 v[38:39], v[114:115], v[38:39]
	v_pk_add_f32 v[40:41], v[96:97], v[40:41]
	v_mov_b32_e32 v101, v43
	v_pk_fma_f32 v[42:43], v[20:21], s[24:25], v[98:99] neg_lo:[0,0,1] neg_hi:[0,0,1]
	v_pk_add_f32 v[38:39], v[116:117], v[38:39]
	v_pk_add_f32 v[40:41], v[100:101], v[40:41]
	v_mov_b32_e32 v105, v43
	;; [unrolled: 4-line block ×3, first 2 shown]
	v_pk_add_f32 v[38:39], v[120:121], v[38:39]
	v_pk_add_f32 v[40:41], v[108:109], v[40:41]
	ds_write2_b64 v122, v[38:39], v[40:41] offset0:6 offset1:7
	v_pk_fma_f32 v[38:39], v[2:3], s[18:19], v[66:67] neg_lo:[0,0,1] neg_hi:[0,0,1]
	v_pk_fma_f32 v[40:41], v[14:15], s[40:41], v[76:77] neg_lo:[0,0,1] neg_hi:[0,0,1]
	;; [unrolled: 1-line block ×4, first 2 shown]
	v_mov_b32_e32 v73, v39
	v_pk_fma_f32 v[38:39], v[8:9], s[26:27], v[74:75] neg_lo:[0,0,1] neg_hi:[0,0,1]
	v_mov_b32_e32 v83, v41
	v_pk_fma_f32 v[40:41], v[20:21], s[2:3], v[80:81] neg_lo:[0,0,1] neg_hi:[0,0,1]
	v_mov_b32_e32 v51, v37
	v_mov_b32_e32 v5, v3
	v_pk_fma_f32 v[2:3], v[8:9], s[16:17], v[12:13] neg_lo:[0,0,1] neg_hi:[0,0,1]
	v_mov_b32_e32 v79, v39
	v_pk_add_f32 v[38:39], v[0:1], v[72:73]
	v_mov_b32_e32 v87, v41
	v_pk_fma_f32 v[40:41], v[26:27], s[22:23], v[84:85] neg_lo:[0,0,1] neg_hi:[0,0,1]
	v_pk_add_f32 v[36:37], v[0:1], v[50:51]
	v_pk_add_f32 v[0:1], v[0:1], v[4:5]
	v_mov_b32_e32 v11, v3
	v_pk_fma_f32 v[2:3], v[14:15], s[18:19], v[18:19] neg_lo:[0,0,1] neg_hi:[0,0,1]
	v_mov_b32_e32 v91, v41
	v_pk_fma_f32 v[40:41], v[8:9], s[22:23], v[52:53] neg_lo:[0,0,1] neg_hi:[0,0,1]
	v_pk_add_f32 v[0:1], v[10:11], v[0:1]
	v_mov_b32_e32 v17, v3
	v_pk_fma_f32 v[2:3], v[20:21], s[22:23], v[24:25] neg_lo:[0,0,1] neg_hi:[0,0,1]
	v_mov_b32_e32 v57, v41
	v_pk_fma_f32 v[40:41], v[14:15], s[26:27], v[54:55] neg_lo:[0,0,1] neg_hi:[0,0,1]
	v_pk_add_f32 v[0:1], v[16:17], v[0:1]
	v_mov_b32_e32 v23, v3
	v_pk_fma_f32 v[2:3], v[26:27], s[24:25], v[30:31] neg_lo:[0,0,1] neg_hi:[0,0,1]
	v_pk_add_f32 v[38:39], v[78:79], v[38:39]
	v_pk_add_f32 v[36:37], v[56:57], v[36:37]
	v_mov_b32_e32 v61, v41
	v_pk_fma_f32 v[40:41], v[20:21], s[28:29], v[58:59] neg_lo:[0,0,1] neg_hi:[0,0,1]
	v_pk_add_f32 v[0:1], v[22:23], v[0:1]
	v_mov_b32_e32 v29, v3
	v_pk_add_f32 v[38:39], v[82:83], v[38:39]
	v_pk_add_f32 v[36:37], v[60:61], v[36:37]
	v_mov_b32_e32 v65, v41
	v_pk_fma_f32 v[40:41], v[26:27], s[30:31], v[62:63] neg_lo:[0,0,1] neg_hi:[0,0,1]
	v_pk_add_f32 v[0:1], v[28:29], v[0:1]
	v_pk_add_f32 v[38:39], v[86:87], v[38:39]
	;; [unrolled: 1-line block ×3, first 2 shown]
	v_mov_b32_e32 v69, v41
	ds_write_b64 v122, v[0:1] offset:80
	v_mul_u32_u24_e32 v0, 10, v33
	v_pk_add_f32 v[106:107], v[112:113], v[106:107]
	v_pk_add_f32 v[38:39], v[90:91], v[38:39]
	;; [unrolled: 1-line block ×3, first 2 shown]
	v_lshlrev_b32_e32 v0, 3, v0
	ds_write2_b64 v122, v[70:71], v[106:107] offset0:4 offset1:5
	ds_write2_b64 v122, v[38:39], v[36:37] offset0:8 offset1:9
	s_waitcnt lgkmcnt(0)
	s_barrier
	global_load_dwordx4 v[2:5], v0, s[4:5]
	global_load_dwordx4 v[6:9], v0, s[4:5] offset:16
	global_load_dwordx4 v[10:13], v0, s[4:5] offset:32
	;; [unrolled: 1-line block ×4, first 2 shown]
	ds_read2_b64 v[22:25], v34 offset0:11 offset1:22
	ds_read_b64 v[0:1], v35
	ds_read2_b64 v[26:29], v34 offset0:33 offset1:44
	s_mov_b32 s5, 0
	s_waitcnt vmcnt(4)
	v_mov_b32_e32 v44, v5
	v_mov_b32_e32 v45, v4
	s_waitcnt lgkmcnt(2)
	v_pk_mul_f32 v[44:45], v[44:45], v[24:25] op_sel:[0,1]
	v_mul_f32_e32 v30, v3, v23
	v_mul_f32_e32 v31, v3, v22
	v_pk_fma_f32 v[46:47], v[4:5], v[24:25], v[44:45] neg_lo:[0,0,1] neg_hi:[0,0,1]
	v_pk_fma_f32 v[4:5], v[4:5], v[24:25], v[44:45] op_sel_hi:[1,0,1]
	v_fma_f32 v30, v2, v22, -v30
	v_fmac_f32_e32 v31, v2, v23
	ds_read2_b64 v[36:39], v34 offset0:66 offset1:77
	ds_read2_b64 v[40:43], v34 offset0:88 offset1:99
	ds_read2_b32 v[2:3], v34 offset0:110 offset1:111
	ds_read_b64 v[22:23], v34 offset:880
	v_mov_b32_e32 v47, v5
	s_waitcnt vmcnt(3) lgkmcnt(4)
	v_pk_mul_f32 v[4:5], v[6:7], v[26:27] op_sel:[0,1]
	s_waitcnt lgkmcnt(0)
	v_pk_fma_f32 v[24:25], v[6:7], v[26:27], v[4:5] op_sel:[0,0,1] op_sel_hi:[1,1,0] neg_lo:[0,0,1] neg_hi:[0,0,1]
	v_pk_fma_f32 v[4:5], v[6:7], v[26:27], v[4:5] op_sel:[0,0,1] op_sel_hi:[1,0,0]
	s_barrier
	v_mov_b32_e32 v25, v5
	v_pk_mul_f32 v[4:5], v[8:9], v[28:29] op_sel:[0,1]
	s_nop 0
	v_pk_fma_f32 v[6:7], v[8:9], v[28:29], v[4:5] op_sel:[0,0,1] op_sel_hi:[1,1,0] neg_lo:[0,0,1] neg_hi:[0,0,1]
	v_pk_fma_f32 v[4:5], v[8:9], v[28:29], v[4:5] op_sel:[0,0,1] op_sel_hi:[1,0,0]
	s_nop 0
	v_mov_b32_e32 v4, v3
	v_mov_b32_e32 v7, v5
	s_waitcnt vmcnt(2)
	v_pk_mul_f32 v[4:5], v[4:5], v[10:11] op_sel_hi:[0,1]
	v_pk_fma_f32 v[8:9], v[10:11], v[2:3], v[4:5] op_sel:[0,0,1] op_sel_hi:[1,1,0] neg_lo:[0,0,1] neg_hi:[0,0,1]
	v_pk_fma_f32 v[2:3], v[10:11], v[2:3], v[4:5] op_sel:[0,0,1] op_sel_hi:[1,0,0]
	s_nop 0
	v_mov_b32_e32 v2, v13
	v_mov_b32_e32 v9, v3
	v_pk_mul_f32 v[2:3], v[36:37], v[2:3] op_sel_hi:[1,0]
	s_nop 0
	v_pk_fma_f32 v[4:5], v[36:37], v[12:13], v[2:3] op_sel:[0,0,1] op_sel_hi:[1,1,0] neg_lo:[0,0,1] neg_hi:[0,0,1]
	v_pk_fma_f32 v[2:3], v[36:37], v[12:13], v[2:3] op_sel:[0,0,1] op_sel_hi:[1,0,0]
	s_nop 0
	v_mov_b32_e32 v5, v3
	s_waitcnt vmcnt(1)
	v_pk_mul_f32 v[2:3], v[38:39], v[14:15] op_sel:[0,1]
	s_nop 0
	v_pk_fma_f32 v[10:11], v[38:39], v[14:15], v[2:3] op_sel:[0,0,1] op_sel_hi:[1,1,0] neg_lo:[0,0,1] neg_hi:[0,0,1]
	v_pk_fma_f32 v[2:3], v[38:39], v[14:15], v[2:3] op_sel:[0,0,1] op_sel_hi:[1,0,0]
	s_nop 0
	v_mov_b32_e32 v2, v17
	v_mov_b32_e32 v11, v3
	v_pk_mul_f32 v[2:3], v[40:41], v[2:3] op_sel_hi:[1,0]
	s_nop 0
	v_pk_fma_f32 v[12:13], v[40:41], v[16:17], v[2:3] op_sel:[0,0,1] op_sel_hi:[1,1,0] neg_lo:[0,0,1] neg_hi:[0,0,1]
	v_pk_fma_f32 v[2:3], v[40:41], v[16:17], v[2:3] op_sel:[0,0,1] op_sel_hi:[1,0,0]
	s_nop 0
	v_mov_b32_e32 v13, v3
	s_waitcnt vmcnt(0)
	v_pk_mul_f32 v[2:3], v[42:43], v[18:19] op_sel:[0,1]
	s_nop 0
	v_pk_fma_f32 v[14:15], v[42:43], v[18:19], v[2:3] op_sel:[0,0,1] op_sel_hi:[1,1,0] neg_lo:[0,0,1] neg_hi:[0,0,1]
	v_pk_fma_f32 v[2:3], v[42:43], v[18:19], v[2:3] op_sel:[0,0,1] op_sel_hi:[1,0,0]
	s_nop 0
	v_mov_b32_e32 v2, v21
	v_mov_b32_e32 v15, v3
	v_pk_mul_f32 v[2:3], v[22:23], v[2:3] op_sel_hi:[1,0]
	s_nop 0
	v_pk_fma_f32 v[16:17], v[22:23], v[20:21], v[2:3] op_sel:[0,0,1] op_sel_hi:[1,0,0] neg_lo:[0,0,1] neg_hi:[0,0,1]
	v_pk_fma_f32 v[18:19], v[22:23], v[20:21], v[2:3] op_sel:[0,0,1] op_sel_hi:[1,0,0]
	v_pk_add_f32 v[2:3], v[30:31], v[0:1]
	v_mov_b32_e32 v17, v19
	v_pk_add_f32 v[2:3], v[2:3], v[46:47]
	v_add_f32_e32 v22, v30, v16
	v_pk_add_f32 v[2:3], v[2:3], v[24:25]
	v_sub_f32_e32 v23, v30, v16
	v_pk_add_f32 v[2:3], v[2:3], v[6:7]
	s_nop 0
	v_pk_add_f32 v[2:3], v[2:3], v[8:9]
	s_nop 0
	;; [unrolled: 2-line block ×6, first 2 shown]
	v_pk_add_f32 v[20:21], v[2:3], v[16:17]
	v_pk_add_f32 v[16:17], v[46:47], v[14:15]
	v_pk_add_f32 v[14:15], v[46:47], v[14:15] neg_lo:[0,1] neg_hi:[0,1]
	v_add_f32_e32 v3, v31, v19
	v_sub_f32_e32 v2, v31, v19
	v_pk_add_f32 v[18:19], v[24:25], v[12:13]
	v_pk_add_f32 v[12:13], v[24:25], v[12:13] neg_lo:[0,1] neg_hi:[0,1]
	v_pk_add_f32 v[24:25], v[6:7], v[10:11]
	v_pk_add_f32 v[6:7], v[6:7], v[10:11] neg_lo:[0,1] neg_hi:[0,1]
	;; [unrolled: 2-line block ×3, first 2 shown]
	v_pk_mul_f32 v[8:9], v[22:23], s[36:37]
	v_mov_b32_e32 v31, v17
	v_mov_b32_e32 v17, v14
	v_pk_fma_f32 v[26:27], v[2:3], s[2:3], v[8:9] neg_lo:[1,0,0] neg_hi:[1,0,0]
	v_pk_fma_f32 v[28:29], v[2:3], s[2:3], v[8:9]
	v_mov_b32_e32 v30, v15
	v_pk_mul_f32 v[14:15], v[16:17], s[44:45]
	v_mov_b32_e32 v27, v29
	v_pk_fma_f32 v[36:37], v[30:31], s[16:17], v[14:15] neg_lo:[1,0,0] neg_hi:[1,0,0]
	v_pk_fma_f32 v[38:39], v[30:31], s[16:17], v[14:15]
	v_pk_add_f32 v[26:27], v[26:27], v[0:1]
	v_mov_b32_e32 v37, v39
	v_pk_add_f32 v[26:27], v[36:37], v[26:27]
	v_mov_b32_e32 v37, v19
	v_mov_b32_e32 v19, v12
	;; [unrolled: 1-line block ×3, first 2 shown]
	v_pk_mul_f32 v[12:13], v[18:19], s[34:35]
	v_pk_mul_f32 v[52:53], v[16:17], s[38:39]
	v_pk_fma_f32 v[40:41], v[36:37], s[18:19], v[12:13] neg_lo:[1,0,0] neg_hi:[1,0,0]
	v_pk_fma_f32 v[42:43], v[36:37], s[18:19], v[12:13]
	v_pk_fma_f32 v[54:55], v[30:31], s[22:23], v[52:53] neg_lo:[1,0,0] neg_hi:[1,0,0]
	v_mov_b32_e32 v41, v43
	v_pk_add_f32 v[26:27], v[40:41], v[26:27]
	v_mov_b32_e32 v41, v25
	v_mov_b32_e32 v25, v6
	v_mov_b32_e32 v40, v7
	v_pk_mul_f32 v[6:7], v[24:25], s[38:39]
	v_pk_fma_f32 v[56:57], v[30:31], s[22:23], v[52:53]
	v_pk_fma_f32 v[44:45], v[40:41], s[22:23], v[6:7] neg_lo:[1,0,0] neg_hi:[1,0,0]
	v_pk_fma_f32 v[46:47], v[40:41], s[22:23], v[6:7]
	v_mov_b32_e32 v55, v57
	v_mov_b32_e32 v45, v47
	v_pk_add_f32 v[26:27], v[44:45], v[26:27]
	v_mov_b32_e32 v45, v11
	v_mov_b32_e32 v11, v4
	;; [unrolled: 1-line block ×3, first 2 shown]
	v_pk_mul_f32 v[4:5], v[10:11], s[42:43]
	v_pk_mul_f32 v[74:75], v[16:17], s[52:53]
	v_pk_fma_f32 v[48:49], v[44:45], s[24:25], v[4:5] neg_lo:[1,0,0] neg_hi:[1,0,0]
	v_pk_fma_f32 v[50:51], v[44:45], s[24:25], v[4:5]
	v_pk_fma_f32 v[76:77], v[30:31], s[26:27], v[74:75] neg_lo:[1,0,0] neg_hi:[1,0,0]
	v_mov_b32_e32 v49, v51
	v_pk_add_f32 v[26:27], v[48:49], v[26:27]
	ds_write2_b64 v34, v[20:21], v[26:27] offset1:11
	v_pk_mul_f32 v[20:21], v[22:23], s[44:45]
	v_pk_fma_f32 v[78:79], v[30:31], s[26:27], v[74:75]
	v_pk_fma_f32 v[26:27], v[2:3], s[16:17], v[20:21] neg_lo:[1,0,0] neg_hi:[1,0,0]
	v_pk_fma_f32 v[48:49], v[2:3], s[16:17], v[20:21]
	v_mov_b32_e32 v77, v79
	v_mov_b32_e32 v27, v49
	v_pk_add_f32 v[26:27], v[26:27], v[0:1]
	v_pk_mul_f32 v[92:93], v[16:17], s[50:51]
	v_pk_add_f32 v[26:27], v[54:55], v[26:27]
	v_pk_mul_f32 v[54:55], v[18:19], s[52:53]
	v_pk_fma_f32 v[94:95], v[30:31], s[28:29], v[92:93] neg_lo:[1,0,0] neg_hi:[1,0,0]
	v_pk_fma_f32 v[58:59], v[36:37], s[26:27], v[54:55] neg_lo:[1,0,0] neg_hi:[1,0,0]
	v_pk_fma_f32 v[60:61], v[36:37], s[26:27], v[54:55]
	v_pk_fma_f32 v[96:97], v[30:31], s[28:29], v[92:93]
	v_mov_b32_e32 v59, v61
	v_pk_add_f32 v[26:27], v[58:59], v[26:27]
	v_pk_mul_f32 v[58:59], v[24:25], s[50:51]
	v_mov_b32_e32 v95, v97
	v_pk_fma_f32 v[62:63], v[40:41], s[28:29], v[58:59] neg_lo:[1,0,0] neg_hi:[1,0,0]
	v_pk_fma_f32 v[64:65], v[40:41], s[28:29], v[58:59]
	v_pk_mul_f32 v[16:17], v[16:17], s[46:47]
	v_mov_b32_e32 v63, v65
	v_pk_add_f32 v[26:27], v[62:63], v[26:27]
	v_pk_mul_f32 v[62:63], v[10:11], s[46:47]
	v_pk_fma_f32 v[112:113], v[30:31], s[30:31], v[16:17] neg_lo:[1,0,0] neg_hi:[1,0,0]
	v_pk_fma_f32 v[66:67], v[44:45], s[30:31], v[62:63] neg_lo:[1,0,0] neg_hi:[1,0,0]
	v_pk_fma_f32 v[68:69], v[44:45], s[30:31], v[62:63]
	v_pk_fma_f32 v[114:115], v[30:31], s[30:31], v[16:17]
	v_mov_b32_e32 v67, v69
	v_pk_add_f32 v[26:27], v[66:67], v[26:27]
	v_pk_mul_f32 v[66:67], v[22:23], s[34:35]
	v_mov_b32_e32 v113, v115
	v_pk_fma_f32 v[70:71], v[2:3], s[18:19], v[66:67] neg_lo:[1,0,0] neg_hi:[1,0,0]
	v_pk_fma_f32 v[72:73], v[2:3], s[18:19], v[66:67]
	v_pk_fma_f32 v[16:17], v[30:31], s[30:31], v[16:17] neg_lo:[0,0,1] neg_hi:[0,0,1]
	v_mov_b32_e32 v71, v73
	v_pk_add_f32 v[70:71], v[70:71], v[0:1]
	v_mov_b32_e32 v115, v17
	v_pk_add_f32 v[70:71], v[76:77], v[70:71]
	v_pk_mul_f32 v[76:77], v[18:19], s[48:49]
	s_nop 0
	v_pk_fma_f32 v[80:81], v[36:37], s[40:41], v[76:77] neg_lo:[1,0,0] neg_hi:[1,0,0]
	v_pk_fma_f32 v[82:83], v[36:37], s[40:41], v[76:77]
	s_nop 0
	v_mov_b32_e32 v81, v83
	v_pk_add_f32 v[70:71], v[80:81], v[70:71]
	v_pk_mul_f32 v[80:81], v[24:25], s[36:37]
	s_nop 0
	v_pk_fma_f32 v[84:85], v[40:41], s[2:3], v[80:81] neg_lo:[1,0,0] neg_hi:[1,0,0]
	v_pk_fma_f32 v[86:87], v[40:41], s[2:3], v[80:81]
	s_nop 0
	;; [unrolled: 7-line block ×3, first 2 shown]
	v_mov_b32_e32 v89, v91
	v_pk_add_f32 v[70:71], v[88:89], v[70:71]
	ds_write2_b64 v34, v[26:27], v[70:71] offset0:22 offset1:33
	v_pk_mul_f32 v[26:27], v[22:23], s[38:39]
	v_pk_mul_f32 v[22:23], v[22:23], s[42:43]
	v_pk_fma_f32 v[70:71], v[2:3], s[22:23], v[26:27] neg_lo:[1,0,0] neg_hi:[1,0,0]
	v_pk_fma_f32 v[88:89], v[2:3], s[22:23], v[26:27]
	v_pk_fma_f32 v[110:111], v[2:3], s[24:25], v[22:23]
	v_mov_b32_e32 v71, v89
	v_pk_add_f32 v[70:71], v[70:71], v[0:1]
	s_nop 0
	v_pk_add_f32 v[70:71], v[94:95], v[70:71]
	v_pk_mul_f32 v[94:95], v[18:19], s[36:37]
	v_pk_mul_f32 v[18:19], v[18:19], s[38:39]
	v_pk_fma_f32 v[98:99], v[36:37], s[2:3], v[94:95] neg_lo:[1,0,0] neg_hi:[1,0,0]
	v_pk_fma_f32 v[100:101], v[36:37], s[2:3], v[94:95]
	v_pk_fma_f32 v[116:117], v[36:37], s[22:23], v[18:19]
	v_mov_b32_e32 v99, v101
	v_pk_add_f32 v[70:71], v[98:99], v[70:71]
	v_pk_mul_f32 v[98:99], v[24:25], s[42:43]
	v_pk_mul_f32 v[24:25], v[24:25], s[48:49]
	v_pk_fma_f32 v[102:103], v[40:41], s[24:25], v[98:99] neg_lo:[1,0,0] neg_hi:[1,0,0]
	v_pk_fma_f32 v[104:105], v[40:41], s[24:25], v[98:99]
	v_pk_fma_f32 v[118:119], v[40:41], s[40:41], v[24:25]
	v_mov_b32_e32 v103, v105
	;; [unrolled: 7-line block ×3, first 2 shown]
	v_pk_add_f32 v[70:71], v[106:107], v[70:71]
	v_pk_fma_f32 v[106:107], v[2:3], s[24:25], v[22:23] neg_lo:[1,0,0] neg_hi:[1,0,0]
	v_pk_fma_f32 v[22:23], v[2:3], s[24:25], v[22:23] neg_lo:[0,0,1] neg_hi:[0,0,1]
	v_mov_b32_e32 v107, v111
	v_pk_add_f32 v[106:107], v[106:107], v[0:1]
	v_mov_b32_e32 v111, v23
	v_pk_add_f32 v[106:107], v[112:113], v[106:107]
	v_pk_fma_f32 v[112:113], v[36:37], s[22:23], v[18:19] neg_lo:[1,0,0] neg_hi:[1,0,0]
	v_pk_add_f32 v[16:17], v[110:111], v[0:1]
	v_mov_b32_e32 v113, v117
	v_pk_add_f32 v[106:107], v[112:113], v[106:107]
	v_pk_fma_f32 v[112:113], v[40:41], s[40:41], v[24:25] neg_lo:[1,0,0] neg_hi:[1,0,0]
	v_pk_fma_f32 v[18:19], v[36:37], s[22:23], v[18:19] neg_lo:[0,0,1] neg_hi:[0,0,1]
	v_mov_b32_e32 v113, v119
	v_pk_add_f32 v[16:17], v[114:115], v[16:17]
	v_mov_b32_e32 v117, v19
	v_pk_fma_f32 v[18:19], v[40:41], s[40:41], v[24:25] neg_lo:[0,0,1] neg_hi:[0,0,1]
	v_pk_add_f32 v[106:107], v[112:113], v[106:107]
	v_pk_fma_f32 v[112:113], v[44:45], s[18:19], v[10:11] neg_lo:[1,0,0] neg_hi:[1,0,0]
	v_pk_add_f32 v[16:17], v[116:117], v[16:17]
	v_mov_b32_e32 v119, v19
	v_pk_fma_f32 v[10:11], v[44:45], s[18:19], v[10:11] neg_lo:[0,0,1] neg_hi:[0,0,1]
	v_mov_b32_e32 v113, v121
	v_pk_add_f32 v[16:17], v[118:119], v[16:17]
	v_mov_b32_e32 v121, v11
	v_pk_add_f32 v[10:11], v[120:121], v[16:17]
	v_pk_fma_f32 v[16:17], v[2:3], s[22:23], v[26:27] neg_lo:[0,0,1] neg_hi:[0,0,1]
	v_pk_fma_f32 v[18:19], v[36:37], s[2:3], v[94:95] neg_lo:[0,0,1] neg_hi:[0,0,1]
	v_mov_b32_e32 v89, v17
	v_pk_fma_f32 v[16:17], v[30:31], s[28:29], v[92:93] neg_lo:[0,0,1] neg_hi:[0,0,1]
	v_mov_b32_e32 v101, v19
	v_mov_b32_e32 v97, v17
	v_pk_add_f32 v[16:17], v[88:89], v[0:1]
	v_pk_fma_f32 v[18:19], v[40:41], s[24:25], v[98:99] neg_lo:[0,0,1] neg_hi:[0,0,1]
	v_pk_add_f32 v[16:17], v[96:97], v[16:17]
	v_mov_b32_e32 v105, v19
	v_pk_add_f32 v[16:17], v[100:101], v[16:17]
	v_pk_fma_f32 v[18:19], v[44:45], s[40:41], v[102:103] neg_lo:[0,0,1] neg_hi:[0,0,1]
	v_pk_add_f32 v[16:17], v[104:105], v[16:17]
	v_mov_b32_e32 v109, v19
	v_pk_add_f32 v[16:17], v[108:109], v[16:17]
	ds_write2_b64 v34, v[10:11], v[16:17] offset0:66 offset1:77
	v_pk_fma_f32 v[16:17], v[36:37], s[40:41], v[76:77] neg_lo:[0,0,1] neg_hi:[0,0,1]
	v_pk_fma_f32 v[10:11], v[2:3], s[18:19], v[66:67] neg_lo:[0,0,1] neg_hi:[0,0,1]
	v_mov_b32_e32 v83, v17
	v_pk_fma_f32 v[16:17], v[40:41], s[2:3], v[80:81] neg_lo:[0,0,1] neg_hi:[0,0,1]
	v_mov_b32_e32 v73, v11
	v_mov_b32_e32 v87, v17
	v_pk_fma_f32 v[16:17], v[44:45], s[22:23], v[84:85] neg_lo:[0,0,1] neg_hi:[0,0,1]
	v_pk_fma_f32 v[10:11], v[30:31], s[26:27], v[74:75] neg_lo:[0,0,1] neg_hi:[0,0,1]
	v_mov_b32_e32 v91, v17
	v_pk_fma_f32 v[16:17], v[2:3], s[16:17], v[20:21] neg_lo:[0,0,1] neg_hi:[0,0,1]
	v_pk_fma_f32 v[2:3], v[2:3], s[2:3], v[8:9] neg_lo:[0,0,1] neg_hi:[0,0,1]
	v_mov_b32_e32 v49, v17
	v_mov_b32_e32 v29, v3
	v_pk_fma_f32 v[2:3], v[30:31], s[16:17], v[14:15] neg_lo:[0,0,1] neg_hi:[0,0,1]
	v_mov_b32_e32 v79, v11
	v_pk_add_f32 v[10:11], v[72:73], v[0:1]
	v_pk_add_f32 v[16:17], v[48:49], v[0:1]
	;; [unrolled: 1-line block ×3, first 2 shown]
	v_mov_b32_e32 v39, v3
	v_pk_fma_f32 v[2:3], v[36:37], s[18:19], v[12:13] neg_lo:[0,0,1] neg_hi:[0,0,1]
	v_pk_add_f32 v[0:1], v[38:39], v[0:1]
	v_mov_b32_e32 v43, v3
	v_pk_fma_f32 v[2:3], v[40:41], s[22:23], v[6:7] neg_lo:[0,0,1] neg_hi:[0,0,1]
	v_pk_fma_f32 v[18:19], v[30:31], s[22:23], v[52:53] neg_lo:[0,0,1] neg_hi:[0,0,1]
	v_pk_add_f32 v[0:1], v[42:43], v[0:1]
	v_mov_b32_e32 v47, v3
	v_pk_fma_f32 v[2:3], v[44:45], s[24:25], v[4:5] neg_lo:[0,0,1] neg_hi:[0,0,1]
	v_mov_b32_e32 v57, v19
	v_pk_fma_f32 v[18:19], v[36:37], s[26:27], v[54:55] neg_lo:[0,0,1] neg_hi:[0,0,1]
	v_pk_add_f32 v[0:1], v[46:47], v[0:1]
	v_mov_b32_e32 v51, v3
	v_pk_add_f32 v[10:11], v[78:79], v[10:11]
	v_pk_add_f32 v[16:17], v[56:57], v[16:17]
	v_mov_b32_e32 v61, v19
	v_pk_fma_f32 v[18:19], v[40:41], s[28:29], v[58:59] neg_lo:[0,0,1] neg_hi:[0,0,1]
	v_pk_add_f32 v[0:1], v[50:51], v[0:1]
	v_pk_add_f32 v[10:11], v[82:83], v[10:11]
	;; [unrolled: 1-line block ×3, first 2 shown]
	v_mov_b32_e32 v65, v19
	v_pk_fma_f32 v[18:19], v[44:45], s[30:31], v[62:63] neg_lo:[0,0,1] neg_hi:[0,0,1]
	ds_write_b64 v34, v[0:1] offset:880
	v_add_u32_e32 v0, s54, v33
	v_pk_add_f32 v[10:11], v[86:87], v[10:11]
	v_pk_add_f32 v[16:17], v[64:65], v[16:17]
	v_mov_b32_e32 v69, v19
	v_cmp_gt_u32_e32 vcc, s12, v0
	v_pk_add_f32 v[106:107], v[112:113], v[106:107]
	v_pk_add_f32 v[10:11], v[90:91], v[10:11]
	;; [unrolled: 1-line block ×3, first 2 shown]
	s_or_b64 s[2:3], s[20:21], vcc
	ds_write2_b64 v34, v[70:71], v[106:107] offset0:44 offset1:55
	ds_write2_b64 v34, v[10:11], v[16:17] offset0:88 offset1:99
	s_waitcnt lgkmcnt(0)
	s_barrier
	s_and_saveexec_b64 s[16:17], s[2:3]
	s_cbranch_execz .LBB0_18
; %bb.17:
	s_load_dwordx2 s[0:1], s[0:1], 0x60
	s_mul_i32 s4, s33, s10
	s_mul_i32 s2, s9, s54
	s_mul_hi_u32 s3, s8, s54
	s_mul_i32 s7, s15, s13
	s_mul_hi_u32 s10, s14, s13
	s_add_i32 s3, s3, s2
	s_mul_i32 s2, s8, s54
	s_add_i32 s11, s10, s7
	s_mul_i32 s10, s14, s13
	v_mad_u64_u32 v[4:5], s[12:13], s8, v33, 0
	v_mov_b32_e32 v0, v5
	s_lshl_b64 s[2:3], s[2:3], 3
	v_mad_u64_u32 v[0:1], s[8:9], s9, v33, v[0:1]
	s_waitcnt lgkmcnt(0)
	s_add_u32 s2, s0, s2
	v_mov_b32_e32 v5, v0
	v_mul_u32_u24_e32 v0, 0x3c8, v33
	v_lshlrev_b32_e32 v1, 3, v32
	s_addc_u32 s3, s1, s3
	s_lshl_b64 s[0:1], s[4:5], 3
	v_add3_u32 v12, 0, v0, v1
	s_add_u32 s2, s2, s0
	s_addc_u32 s3, s3, s1
	s_lshl_b64 s[0:1], s[10:11], 3
	ds_read2_b64 v[0:3], v12 offset1:11
	s_add_u32 s0, s2, s0
	s_addc_u32 s1, s3, s1
	v_mul_lo_u32 v8, s6, v32
	v_mov_b32_e32 v9, 0
	v_lshl_add_u64 v[10:11], v[4:5], 3, s[0:1]
	v_lshl_add_u64 v[4:5], v[8:9], 3, v[10:11]
	s_waitcnt lgkmcnt(0)
	global_store_dwordx2 v[4:5], v[0:1], off
	ds_read2_b64 v[4:7], v12 offset0:22 offset1:33
	s_mul_i32 s0, s6, 11
	v_add_u32_e32 v8, s0, v8
	v_lshl_add_u64 v[0:1], v[8:9], 3, v[10:11]
	v_add_u32_e32 v8, s0, v8
	global_store_dwordx2 v[0:1], v[2:3], off
	v_lshl_add_u64 v[0:1], v[8:9], 3, v[10:11]
	s_waitcnt lgkmcnt(0)
	global_store_dwordx2 v[0:1], v[4:5], off
	ds_read2_b64 v[0:3], v12 offset0:44 offset1:55
	v_add_u32_e32 v8, s0, v8
	v_lshl_add_u64 v[4:5], v[8:9], 3, v[10:11]
	v_add_u32_e32 v8, s0, v8
	global_store_dwordx2 v[4:5], v[6:7], off
	v_lshl_add_u64 v[4:5], v[8:9], 3, v[10:11]
	s_waitcnt lgkmcnt(0)
	global_store_dwordx2 v[4:5], v[0:1], off
	ds_read2_b64 v[4:7], v12 offset0:66 offset1:77
	;; [unrolled: 8-line block ×3, first 2 shown]
	v_add_u32_e32 v8, s0, v8
	v_lshl_add_u64 v[4:5], v[8:9], 3, v[10:11]
	v_add_u32_e32 v8, s0, v8
	global_store_dwordx2 v[4:5], v[6:7], off
	v_lshl_add_u64 v[4:5], v[8:9], 3, v[10:11]
	s_waitcnt lgkmcnt(0)
	global_store_dwordx2 v[4:5], v[0:1], off
	ds_read_b64 v[0:1], v12 offset:880
	v_add_u32_e32 v8, s0, v8
	v_lshl_add_u64 v[4:5], v[8:9], 3, v[10:11]
	v_add_u32_e32 v8, s0, v8
	global_store_dwordx2 v[4:5], v[2:3], off
	v_lshl_add_u64 v[2:3], v[8:9], 3, v[10:11]
	s_waitcnt lgkmcnt(0)
	global_store_dwordx2 v[2:3], v[0:1], off
.LBB0_18:
	s_endpgm
	.section	.rodata,"a",@progbits
	.p2align	6, 0x0
	.amdhsa_kernel fft_rtc_fwd_len121_factors_11_11_wgs_121_tpt_11_sp_op_CI_CI_sbrc_z_xy_unaligned
		.amdhsa_group_segment_fixed_size 0
		.amdhsa_private_segment_fixed_size 0
		.amdhsa_kernarg_size 104
		.amdhsa_user_sgpr_count 2
		.amdhsa_user_sgpr_dispatch_ptr 0
		.amdhsa_user_sgpr_queue_ptr 0
		.amdhsa_user_sgpr_kernarg_segment_ptr 1
		.amdhsa_user_sgpr_dispatch_id 0
		.amdhsa_user_sgpr_kernarg_preload_length 0
		.amdhsa_user_sgpr_kernarg_preload_offset 0
		.amdhsa_user_sgpr_private_segment_size 0
		.amdhsa_uses_dynamic_stack 0
		.amdhsa_enable_private_segment 0
		.amdhsa_system_sgpr_workgroup_id_x 1
		.amdhsa_system_sgpr_workgroup_id_y 0
		.amdhsa_system_sgpr_workgroup_id_z 0
		.amdhsa_system_sgpr_workgroup_info 0
		.amdhsa_system_vgpr_workitem_id 0
		.amdhsa_next_free_vgpr 123
		.amdhsa_next_free_sgpr 55
		.amdhsa_accum_offset 124
		.amdhsa_reserve_vcc 1
		.amdhsa_float_round_mode_32 0
		.amdhsa_float_round_mode_16_64 0
		.amdhsa_float_denorm_mode_32 3
		.amdhsa_float_denorm_mode_16_64 3
		.amdhsa_dx10_clamp 1
		.amdhsa_ieee_mode 1
		.amdhsa_fp16_overflow 0
		.amdhsa_tg_split 0
		.amdhsa_exception_fp_ieee_invalid_op 0
		.amdhsa_exception_fp_denorm_src 0
		.amdhsa_exception_fp_ieee_div_zero 0
		.amdhsa_exception_fp_ieee_overflow 0
		.amdhsa_exception_fp_ieee_underflow 0
		.amdhsa_exception_fp_ieee_inexact 0
		.amdhsa_exception_int_div_zero 0
	.end_amdhsa_kernel
	.text
.Lfunc_end0:
	.size	fft_rtc_fwd_len121_factors_11_11_wgs_121_tpt_11_sp_op_CI_CI_sbrc_z_xy_unaligned, .Lfunc_end0-fft_rtc_fwd_len121_factors_11_11_wgs_121_tpt_11_sp_op_CI_CI_sbrc_z_xy_unaligned
                                        ; -- End function
	.section	.AMDGPU.csdata,"",@progbits
; Kernel info:
; codeLenInByte = 6188
; NumSgprs: 61
; NumVgprs: 123
; NumAgprs: 0
; TotalNumVgprs: 123
; ScratchSize: 0
; MemoryBound: 0
; FloatMode: 240
; IeeeMode: 1
; LDSByteSize: 0 bytes/workgroup (compile time only)
; SGPRBlocks: 7
; VGPRBlocks: 15
; NumSGPRsForWavesPerEU: 61
; NumVGPRsForWavesPerEU: 123
; AccumOffset: 124
; Occupancy: 4
; WaveLimiterHint : 1
; COMPUTE_PGM_RSRC2:SCRATCH_EN: 0
; COMPUTE_PGM_RSRC2:USER_SGPR: 2
; COMPUTE_PGM_RSRC2:TRAP_HANDLER: 0
; COMPUTE_PGM_RSRC2:TGID_X_EN: 1
; COMPUTE_PGM_RSRC2:TGID_Y_EN: 0
; COMPUTE_PGM_RSRC2:TGID_Z_EN: 0
; COMPUTE_PGM_RSRC2:TIDIG_COMP_CNT: 0
; COMPUTE_PGM_RSRC3_GFX90A:ACCUM_OFFSET: 30
; COMPUTE_PGM_RSRC3_GFX90A:TG_SPLIT: 0
	.text
	.p2alignl 6, 3212836864
	.fill 256, 4, 3212836864
	.type	__hip_cuid_452e860e48ab2f13,@object ; @__hip_cuid_452e860e48ab2f13
	.section	.bss,"aw",@nobits
	.globl	__hip_cuid_452e860e48ab2f13
__hip_cuid_452e860e48ab2f13:
	.byte	0                               ; 0x0
	.size	__hip_cuid_452e860e48ab2f13, 1

	.ident	"AMD clang version 19.0.0git (https://github.com/RadeonOpenCompute/llvm-project roc-6.4.0 25133 c7fe45cf4b819c5991fe208aaa96edf142730f1d)"
	.section	".note.GNU-stack","",@progbits
	.addrsig
	.addrsig_sym __hip_cuid_452e860e48ab2f13
	.amdgpu_metadata
---
amdhsa.kernels:
  - .agpr_count:     0
    .args:
      - .actual_access:  read_only
        .address_space:  global
        .offset:         0
        .size:           8
        .value_kind:     global_buffer
      - .offset:         8
        .size:           8
        .value_kind:     by_value
      - .actual_access:  read_only
        .address_space:  global
        .offset:         16
        .size:           8
        .value_kind:     global_buffer
      - .actual_access:  read_only
        .address_space:  global
        .offset:         24
        .size:           8
        .value_kind:     global_buffer
      - .actual_access:  read_only
        .address_space:  global
        .offset:         32
        .size:           8
        .value_kind:     global_buffer
      - .offset:         40
        .size:           8
        .value_kind:     by_value
      - .actual_access:  read_only
        .address_space:  global
        .offset:         48
        .size:           8
        .value_kind:     global_buffer
      - .actual_access:  read_only
        .address_space:  global
        .offset:         56
        .size:           8
        .value_kind:     global_buffer
      - .offset:         64
        .size:           4
        .value_kind:     by_value
      - .actual_access:  read_only
        .address_space:  global
        .offset:         72
        .size:           8
        .value_kind:     global_buffer
      - .actual_access:  read_only
        .address_space:  global
        .offset:         80
        .size:           8
        .value_kind:     global_buffer
      - .actual_access:  read_only
        .address_space:  global
        .offset:         88
        .size:           8
        .value_kind:     global_buffer
      - .actual_access:  write_only
        .address_space:  global
        .offset:         96
        .size:           8
        .value_kind:     global_buffer
    .group_segment_fixed_size: 0
    .kernarg_segment_align: 8
    .kernarg_segment_size: 104
    .language:       OpenCL C
    .language_version:
      - 2
      - 0
    .max_flat_workgroup_size: 121
    .name:           fft_rtc_fwd_len121_factors_11_11_wgs_121_tpt_11_sp_op_CI_CI_sbrc_z_xy_unaligned
    .private_segment_fixed_size: 0
    .sgpr_count:     61
    .sgpr_spill_count: 0
    .symbol:         fft_rtc_fwd_len121_factors_11_11_wgs_121_tpt_11_sp_op_CI_CI_sbrc_z_xy_unaligned.kd
    .uniform_work_group_size: 1
    .uses_dynamic_stack: false
    .vgpr_count:     123
    .vgpr_spill_count: 0
    .wavefront_size: 64
amdhsa.target:   amdgcn-amd-amdhsa--gfx950
amdhsa.version:
  - 1
  - 2
...

	.end_amdgpu_metadata
